;; amdgpu-corpus repo=ROCm/rocFFT kind=compiled arch=gfx906 opt=O3
	.text
	.amdgcn_target "amdgcn-amd-amdhsa--gfx906"
	.amdhsa_code_object_version 6
	.protected	fft_rtc_back_len1386_factors_2_7_3_11_3_wgs_231_tpt_231_halfLds_half_op_CI_CI_unitstride_sbrr_dirReg ; -- Begin function fft_rtc_back_len1386_factors_2_7_3_11_3_wgs_231_tpt_231_halfLds_half_op_CI_CI_unitstride_sbrr_dirReg
	.globl	fft_rtc_back_len1386_factors_2_7_3_11_3_wgs_231_tpt_231_halfLds_half_op_CI_CI_unitstride_sbrr_dirReg
	.p2align	8
	.type	fft_rtc_back_len1386_factors_2_7_3_11_3_wgs_231_tpt_231_halfLds_half_op_CI_CI_unitstride_sbrr_dirReg,@function
fft_rtc_back_len1386_factors_2_7_3_11_3_wgs_231_tpt_231_halfLds_half_op_CI_CI_unitstride_sbrr_dirReg: ; @fft_rtc_back_len1386_factors_2_7_3_11_3_wgs_231_tpt_231_halfLds_half_op_CI_CI_unitstride_sbrr_dirReg
; %bb.0:
	s_load_dwordx4 s[8:11], s[4:5], 0x58
	s_load_dwordx4 s[12:15], s[4:5], 0x0
	;; [unrolled: 1-line block ×3, first 2 shown]
	v_mul_u32_u24_e32 v1, 0x11c, v0
	v_mov_b32_e32 v7, 0
	v_mov_b32_e32 v5, 0
	s_waitcnt lgkmcnt(0)
	v_cmp_lt_u64_e64 s[0:1], s[14:15], 2
	v_add_u32_sdwa v9, s6, v1 dst_sel:DWORD dst_unused:UNUSED_PAD src0_sel:DWORD src1_sel:WORD_1
	v_mov_b32_e32 v10, v7
	s_and_b64 vcc, exec, s[0:1]
	v_mov_b32_e32 v6, 0
	s_cbranch_vccnz .LBB0_8
; %bb.1:
	s_load_dwordx2 s[0:1], s[4:5], 0x10
	s_add_u32 s2, s18, 8
	s_addc_u32 s3, s19, 0
	s_add_u32 s6, s16, 8
	s_addc_u32 s7, s17, 0
	v_mov_b32_e32 v5, 0
	s_waitcnt lgkmcnt(0)
	s_add_u32 s20, s0, 8
	v_mov_b32_e32 v6, 0
	v_mov_b32_e32 v1, v5
	s_addc_u32 s21, s1, 0
	s_mov_b64 s[22:23], 1
	v_mov_b32_e32 v2, v6
.LBB0_2:                                ; =>This Inner Loop Header: Depth=1
	s_load_dwordx2 s[24:25], s[20:21], 0x0
                                        ; implicit-def: $vgpr3_vgpr4
	s_waitcnt lgkmcnt(0)
	v_or_b32_e32 v8, s25, v10
	v_cmp_ne_u64_e32 vcc, 0, v[7:8]
	s_and_saveexec_b64 s[0:1], vcc
	s_xor_b64 s[26:27], exec, s[0:1]
	s_cbranch_execz .LBB0_4
; %bb.3:                                ;   in Loop: Header=BB0_2 Depth=1
	v_cvt_f32_u32_e32 v3, s24
	v_cvt_f32_u32_e32 v4, s25
	s_sub_u32 s0, 0, s24
	s_subb_u32 s1, 0, s25
	v_mac_f32_e32 v3, 0x4f800000, v4
	v_rcp_f32_e32 v3, v3
	v_mul_f32_e32 v3, 0x5f7ffffc, v3
	v_mul_f32_e32 v4, 0x2f800000, v3
	v_trunc_f32_e32 v4, v4
	v_mac_f32_e32 v3, 0xcf800000, v4
	v_cvt_u32_f32_e32 v4, v4
	v_cvt_u32_f32_e32 v3, v3
	v_mul_lo_u32 v8, s0, v4
	v_mul_hi_u32 v11, s0, v3
	v_mul_lo_u32 v13, s1, v3
	v_mul_lo_u32 v12, s0, v3
	v_add_u32_e32 v8, v11, v8
	v_add_u32_e32 v8, v8, v13
	v_mul_hi_u32 v11, v3, v12
	v_mul_lo_u32 v13, v3, v8
	v_mul_hi_u32 v15, v3, v8
	v_mul_hi_u32 v14, v4, v12
	v_mul_lo_u32 v12, v4, v12
	v_mul_hi_u32 v16, v4, v8
	v_add_co_u32_e32 v11, vcc, v11, v13
	v_addc_co_u32_e32 v13, vcc, 0, v15, vcc
	v_mul_lo_u32 v8, v4, v8
	v_add_co_u32_e32 v11, vcc, v11, v12
	v_addc_co_u32_e32 v11, vcc, v13, v14, vcc
	v_addc_co_u32_e32 v12, vcc, 0, v16, vcc
	v_add_co_u32_e32 v8, vcc, v11, v8
	v_addc_co_u32_e32 v11, vcc, 0, v12, vcc
	v_add_co_u32_e32 v3, vcc, v3, v8
	v_addc_co_u32_e32 v4, vcc, v4, v11, vcc
	v_mul_lo_u32 v8, s0, v4
	v_mul_hi_u32 v11, s0, v3
	v_mul_lo_u32 v12, s1, v3
	v_mul_lo_u32 v13, s0, v3
	v_add_u32_e32 v8, v11, v8
	v_add_u32_e32 v8, v8, v12
	v_mul_lo_u32 v14, v3, v8
	v_mul_hi_u32 v15, v3, v13
	v_mul_hi_u32 v16, v3, v8
	v_mul_hi_u32 v12, v4, v13
	v_mul_lo_u32 v13, v4, v13
	v_mul_hi_u32 v11, v4, v8
	v_add_co_u32_e32 v14, vcc, v15, v14
	v_addc_co_u32_e32 v15, vcc, 0, v16, vcc
	v_mul_lo_u32 v8, v4, v8
	v_add_co_u32_e32 v13, vcc, v14, v13
	v_addc_co_u32_e32 v12, vcc, v15, v12, vcc
	v_addc_co_u32_e32 v11, vcc, 0, v11, vcc
	v_add_co_u32_e32 v8, vcc, v12, v8
	v_addc_co_u32_e32 v11, vcc, 0, v11, vcc
	v_add_co_u32_e32 v8, vcc, v3, v8
	v_addc_co_u32_e32 v11, vcc, v4, v11, vcc
	v_mad_u64_u32 v[3:4], s[0:1], v9, v11, 0
	v_mul_hi_u32 v12, v9, v8
	v_add_co_u32_e32 v13, vcc, v12, v3
	v_addc_co_u32_e32 v14, vcc, 0, v4, vcc
	v_mad_u64_u32 v[3:4], s[0:1], v10, v8, 0
	v_mad_u64_u32 v[11:12], s[0:1], v10, v11, 0
	v_add_co_u32_e32 v3, vcc, v13, v3
	v_addc_co_u32_e32 v3, vcc, v14, v4, vcc
	v_addc_co_u32_e32 v4, vcc, 0, v12, vcc
	v_add_co_u32_e32 v8, vcc, v3, v11
	v_addc_co_u32_e32 v11, vcc, 0, v4, vcc
	v_mul_lo_u32 v12, s25, v8
	v_mul_lo_u32 v13, s24, v11
	v_mad_u64_u32 v[3:4], s[0:1], s24, v8, 0
	v_add3_u32 v4, v4, v13, v12
	v_sub_u32_e32 v12, v10, v4
	v_mov_b32_e32 v13, s25
	v_sub_co_u32_e32 v3, vcc, v9, v3
	v_subb_co_u32_e64 v12, s[0:1], v12, v13, vcc
	v_subrev_co_u32_e64 v13, s[0:1], s24, v3
	v_subbrev_co_u32_e64 v12, s[0:1], 0, v12, s[0:1]
	v_cmp_le_u32_e64 s[0:1], s25, v12
	v_cndmask_b32_e64 v14, 0, -1, s[0:1]
	v_cmp_le_u32_e64 s[0:1], s24, v13
	v_cndmask_b32_e64 v13, 0, -1, s[0:1]
	v_cmp_eq_u32_e64 s[0:1], s25, v12
	v_cndmask_b32_e64 v12, v14, v13, s[0:1]
	v_add_co_u32_e64 v13, s[0:1], 2, v8
	v_addc_co_u32_e64 v14, s[0:1], 0, v11, s[0:1]
	v_add_co_u32_e64 v15, s[0:1], 1, v8
	v_addc_co_u32_e64 v16, s[0:1], 0, v11, s[0:1]
	v_subb_co_u32_e32 v4, vcc, v10, v4, vcc
	v_cmp_ne_u32_e64 s[0:1], 0, v12
	v_cmp_le_u32_e32 vcc, s25, v4
	v_cndmask_b32_e64 v12, v16, v14, s[0:1]
	v_cndmask_b32_e64 v14, 0, -1, vcc
	v_cmp_le_u32_e32 vcc, s24, v3
	v_cndmask_b32_e64 v3, 0, -1, vcc
	v_cmp_eq_u32_e32 vcc, s25, v4
	v_cndmask_b32_e32 v3, v14, v3, vcc
	v_cmp_ne_u32_e32 vcc, 0, v3
	v_cndmask_b32_e64 v3, v15, v13, s[0:1]
	v_cndmask_b32_e32 v4, v11, v12, vcc
	v_cndmask_b32_e32 v3, v8, v3, vcc
.LBB0_4:                                ;   in Loop: Header=BB0_2 Depth=1
	s_andn2_saveexec_b64 s[0:1], s[26:27]
	s_cbranch_execz .LBB0_6
; %bb.5:                                ;   in Loop: Header=BB0_2 Depth=1
	v_cvt_f32_u32_e32 v3, s24
	s_sub_i32 s26, 0, s24
	v_rcp_iflag_f32_e32 v3, v3
	v_mul_f32_e32 v3, 0x4f7ffffe, v3
	v_cvt_u32_f32_e32 v3, v3
	v_mul_lo_u32 v4, s26, v3
	v_mul_hi_u32 v4, v3, v4
	v_add_u32_e32 v3, v3, v4
	v_mul_hi_u32 v3, v9, v3
	v_mul_lo_u32 v4, v3, s24
	v_add_u32_e32 v8, 1, v3
	v_sub_u32_e32 v4, v9, v4
	v_subrev_u32_e32 v11, s24, v4
	v_cmp_le_u32_e32 vcc, s24, v4
	v_cndmask_b32_e32 v4, v4, v11, vcc
	v_cndmask_b32_e32 v3, v3, v8, vcc
	v_add_u32_e32 v8, 1, v3
	v_cmp_le_u32_e32 vcc, s24, v4
	v_cndmask_b32_e32 v3, v3, v8, vcc
	v_mov_b32_e32 v4, v7
.LBB0_6:                                ;   in Loop: Header=BB0_2 Depth=1
	s_or_b64 exec, exec, s[0:1]
	v_mul_lo_u32 v8, v4, s24
	v_mul_lo_u32 v13, v3, s25
	v_mad_u64_u32 v[11:12], s[0:1], v3, s24, 0
	s_load_dwordx2 s[0:1], s[6:7], 0x0
	s_load_dwordx2 s[24:25], s[2:3], 0x0
	v_add3_u32 v8, v12, v13, v8
	v_sub_co_u32_e32 v9, vcc, v9, v11
	v_subb_co_u32_e32 v8, vcc, v10, v8, vcc
	s_waitcnt lgkmcnt(0)
	v_mul_lo_u32 v10, s0, v8
	v_mul_lo_u32 v11, s1, v9
	v_mad_u64_u32 v[5:6], s[0:1], s0, v9, v[5:6]
	v_mul_lo_u32 v8, s24, v8
	v_mul_lo_u32 v12, s25, v9
	v_mad_u64_u32 v[1:2], s[0:1], s24, v9, v[1:2]
	s_add_u32 s22, s22, 1
	s_addc_u32 s23, s23, 0
	s_add_u32 s2, s2, 8
	v_add3_u32 v2, v12, v2, v8
	s_addc_u32 s3, s3, 0
	v_mov_b32_e32 v8, s14
	s_add_u32 s6, s6, 8
	v_mov_b32_e32 v9, s15
	s_addc_u32 s7, s7, 0
	v_cmp_ge_u64_e32 vcc, s[22:23], v[8:9]
	s_add_u32 s20, s20, 8
	v_add3_u32 v6, v11, v6, v10
	s_addc_u32 s21, s21, 0
	s_cbranch_vccnz .LBB0_9
; %bb.7:                                ;   in Loop: Header=BB0_2 Depth=1
	v_mov_b32_e32 v10, v4
	v_mov_b32_e32 v9, v3
	s_branch .LBB0_2
.LBB0_8:
	v_mov_b32_e32 v1, v5
	v_mov_b32_e32 v3, v9
	;; [unrolled: 1-line block ×4, first 2 shown]
.LBB0_9:
	s_load_dwordx2 s[4:5], s[4:5], 0x28
	s_lshl_b64 s[6:7], s[14:15], 3
	s_add_u32 s2, s18, s6
	s_addc_u32 s3, s19, s7
                                        ; implicit-def: $sgpr14
                                        ; implicit-def: $vgpr7
	s_waitcnt lgkmcnt(0)
	v_cmp_gt_u64_e64 s[0:1], s[4:5], v[3:4]
	v_cmp_le_u64_e32 vcc, s[4:5], v[3:4]
	s_and_saveexec_b64 s[4:5], vcc
	s_xor_b64 s[4:5], exec, s[4:5]
; %bb.10:
	s_mov_b32 s14, 0x11bb4a5
	v_mul_hi_u32 v5, v0, s14
	s_mov_b32 s14, 0
	v_mul_u32_u24_e32 v5, 0xe7, v5
	v_sub_u32_e32 v7, v0, v5
                                        ; implicit-def: $vgpr0
                                        ; implicit-def: $vgpr5_vgpr6
; %bb.11:
	s_or_saveexec_b64 s[4:5], s[4:5]
	v_mov_b32_e32 v8, s14
	v_mov_b32_e32 v17, s14
	;; [unrolled: 1-line block ×3, first 2 shown]
                                        ; implicit-def: $vgpr16
                                        ; implicit-def: $vgpr9
                                        ; implicit-def: $vgpr18
                                        ; implicit-def: $vgpr11
                                        ; implicit-def: $vgpr20
                                        ; implicit-def: $vgpr12
	s_xor_b64 exec, exec, s[4:5]
	s_cbranch_execz .LBB0_13
; %bb.12:
	s_add_u32 s6, s16, s6
	s_addc_u32 s7, s17, s7
	s_load_dwordx2 s[6:7], s[6:7], 0x0
	s_mov_b32 s14, 0x11bb4a5
	v_mul_hi_u32 v7, v0, s14
	v_lshlrev_b64 v[5:6], 2, v[5:6]
	s_waitcnt lgkmcnt(0)
	v_mul_lo_u32 v10, s7, v3
	v_mul_lo_u32 v11, s6, v4
	v_mad_u64_u32 v[8:9], s[6:7], s6, v3, 0
	v_mul_u32_u24_e32 v7, 0xe7, v7
	v_sub_u32_e32 v7, v0, v7
	v_add3_u32 v9, v9, v11, v10
	v_lshlrev_b64 v[8:9], 2, v[8:9]
	v_mov_b32_e32 v0, s9
	v_add_co_u32_e32 v8, vcc, s8, v8
	v_addc_co_u32_e32 v0, vcc, v0, v9, vcc
	v_add_co_u32_e32 v5, vcc, v8, v5
	v_addc_co_u32_e32 v0, vcc, v0, v6, vcc
	v_lshlrev_b32_e32 v6, 2, v7
	v_add_co_u32_e32 v5, vcc, v5, v6
	v_addc_co_u32_e32 v6, vcc, 0, v0, vcc
	v_add_co_u32_e32 v13, vcc, 0x1000, v5
	global_load_dword v8, v[5:6], off
	global_load_dword v17, v[5:6], off offset:924
	v_addc_co_u32_e32 v14, vcc, 0, v6, vcc
	global_load_dword v9, v[5:6], off offset:2772
	global_load_dword v11, v[5:6], off offset:3696
	;; [unrolled: 1-line block ×4, first 2 shown]
	s_waitcnt vmcnt(3)
	v_lshrrev_b32_e32 v16, 16, v9
	s_waitcnt vmcnt(2)
	v_lshrrev_b32_e32 v18, 16, v11
	;; [unrolled: 2-line block ×3, first 2 shown]
.LBB0_13:
	s_or_b64 exec, exec, s[4:5]
	v_sub_f16_e32 v10, v8, v9
	v_fma_f16 v9, v8, 2.0, -v10
	s_load_dwordx2 s[2:3], s[2:3], 0x0
	v_sub_f16_e32 v11, v17, v11
	v_lshl_add_u32 v22, v7, 2, 0
	v_pack_b32_f16 v0, v9, v10
	v_fma_f16 v13, v17, 2.0, -v11
	s_waitcnt vmcnt(0)
	v_sub_f16_e32 v12, v21, v12
	ds_write_b32 v22, v0
	v_add_u32_e32 v0, 0xe7, v7
	v_fma_f16 v14, v21, 2.0, -v12
	v_lshl_add_u32 v23, v0, 2, 0
	v_pack_b32_f16 v6, v13, v11
	v_lshlrev_b32_e32 v5, 1, v7
	ds_write_b32 v23, v6
	v_pack_b32_f16 v6, v14, v12
	s_movk_i32 s4, 0xc6
	v_add_u32_e32 v24, 0x738, v22
	ds_write_b32 v22, v6 offset:1848
	v_cmp_gt_u32_e32 vcc, s4, v7
	v_sub_u32_e32 v6, v22, v5
	s_waitcnt lgkmcnt(0)
	s_barrier
	s_waitcnt lgkmcnt(0)
                                        ; implicit-def: $vgpr15
	s_and_saveexec_b64 s[4:5], vcc
	s_cbranch_execz .LBB0_15
; %bb.14:
	ds_read_u16 v9, v6
	ds_read_u16 v10, v6 offset:396
	ds_read_u16 v13, v6 offset:792
	;; [unrolled: 1-line block ×6, first 2 shown]
.LBB0_15:
	s_or_b64 exec, exec, s[4:5]
	v_lshrrev_b32_e32 v8, 16, v8
	v_sub_f16_e32 v16, v8, v16
	v_lshrrev_b32_e32 v19, 16, v17
	v_lshrrev_b32_e32 v21, 16, v21
	v_fma_f16 v8, v8, 2.0, -v16
	v_sub_f16_e32 v17, v19, v18
	v_sub_f16_e32 v18, v21, v20
	v_fma_f16 v19, v19, 2.0, -v17
	v_fma_f16 v20, v21, 2.0, -v18
	v_pack_b32_f16 v21, v8, v16
	s_waitcnt lgkmcnt(0)
	s_barrier
	ds_write_b32 v22, v21
	v_pack_b32_f16 v21, v19, v17
	ds_write_b32 v23, v21
	v_pack_b32_f16 v21, v20, v18
	ds_write_b32 v24, v21
	s_waitcnt lgkmcnt(0)
	s_barrier
	s_waitcnt lgkmcnt(0)
                                        ; implicit-def: $vgpr21
	s_and_saveexec_b64 s[4:5], vcc
	s_cbranch_execz .LBB0_17
; %bb.16:
	ds_read_u16 v8, v6
	ds_read_u16 v16, v6 offset:396
	ds_read_u16 v19, v6 offset:792
	;; [unrolled: 1-line block ×6, first 2 shown]
.LBB0_17:
	s_or_b64 exec, exec, s[4:5]
	v_and_b32_e32 v6, 1, v7
	v_mul_u32_u24_e32 v22, 6, v6
	v_lshlrev_b32_e32 v22, 2, v22
	global_load_dwordx4 v[23:26], v22, s[12:13]
	global_load_dwordx2 v[27:28], v22, s[12:13] offset:16
	s_movk_i32 s7, 0x2b26
	s_movk_i32 s8, 0x3846
	s_mov_b32 s9, 0xbcab
	s_mov_b32 s6, 0xb70e
	s_waitcnt vmcnt(0) lgkmcnt(0)
	s_barrier
	v_mul_f16_sdwa v22, v16, v23 dst_sel:DWORD dst_unused:UNUSED_PAD src0_sel:DWORD src1_sel:WORD_1
	v_mul_f16_sdwa v30, v19, v24 dst_sel:DWORD dst_unused:UNUSED_PAD src0_sel:DWORD src1_sel:WORD_1
	;; [unrolled: 1-line block ×12, first 2 shown]
	v_fma_f16 v22, v10, v23, v22
	v_fma_f16 v13, v13, v24, v30
	;; [unrolled: 1-line block ×4, first 2 shown]
	v_fma_f16 v16, v16, v23, -v29
	v_fma_f16 v19, v19, v24, -v31
	v_fma_f16 v11, v11, v25, v32
	v_fma_f16 v23, v17, v25, -v33
	v_fma_f16 v14, v14, v26, v34
	v_fma_f16 v20, v20, v26, -v35
	v_fma_f16 v18, v18, v27, -v37
	;; [unrolled: 1-line block ×3, first 2 shown]
	v_add_f16_e32 v26, v22, v15
	v_add_f16_e32 v27, v13, v12
	v_sub_f16_e32 v24, v16, v21
	v_sub_f16_e32 v25, v19, v18
	v_add_f16_e32 v10, v11, v14
	v_sub_f16_e32 v17, v20, v23
	v_add_f16_e32 v28, v27, v26
	v_sub_f16_e32 v29, v26, v10
	v_sub_f16_e32 v32, v10, v27
	v_add_f16_e32 v30, v17, v25
	v_sub_f16_e32 v33, v17, v25
	v_sub_f16_e32 v17, v24, v17
	v_add_f16_e32 v10, v10, v28
	v_mul_f16_e32 v34, 0x3a52, v29
	v_mul_f16_e32 v31, 0xb574, v17
	v_add_f16_e32 v9, v9, v10
	v_add_f16_e32 v35, v30, v24
	v_fma_f16 v17, v33, s8, v31
	v_fma_f16 v29, v32, s7, v34
	;; [unrolled: 1-line block ×4, first 2 shown]
	v_add_f16_e32 v29, v29, v30
	v_sub_f16_e32 v10, v29, v28
	v_lshrrev_b32_e32 v17, 1, v7
	s_and_saveexec_b64 s[4:5], vcc
	s_cbranch_execz .LBB0_19
; %bb.18:
	v_sub_f16_e32 v26, v27, v26
	s_mov_b32 s14, 0xb9e0
	v_fma_f16 v27, v26, s14, -v34
	v_sub_f16_e32 v24, v25, v24
	s_movk_i32 s14, 0x3b00
	v_mul_f16_e32 v35, 0xb70e, v35
	v_fma_f16 v25, v24, s14, -v31
	v_mul_f16_e32 v33, 0x3846, v33
	v_add_f16_e32 v27, v27, v30
	v_add_f16_e32 v25, v35, v25
	s_mov_b32 s14, 0xbb00
	v_mul_f16_e32 v32, 0x2b26, v32
	v_sub_f16_e32 v31, v27, v25
	v_fma_f16 v24, v24, s14, -v33
	s_movk_i32 s14, 0x39e0
	v_add_f16_e32 v25, v25, v27
	v_mul_u32_u24_e32 v27, 14, v17
	v_fma_f16 v26, v26, s14, -v32
	v_or_b32_e32 v27, v27, v6
	v_add_f16_e32 v24, v35, v24
	v_add_f16_e32 v26, v26, v30
	v_lshl_add_u32 v27, v27, 1, 0
	v_add_f16_e32 v30, v24, v26
	v_sub_f16_e32 v24, v26, v24
	v_add_f16_e32 v26, v28, v29
	ds_write_b16 v27, v9
	ds_write_b16 v27, v26 offset:4
	ds_write_b16 v27, v25 offset:8
	;; [unrolled: 1-line block ×6, first 2 shown]
.LBB0_19:
	s_or_b64 exec, exec, s[4:5]
	v_add_f16_e32 v21, v16, v21
	v_add_f16_e32 v19, v19, v18
	v_sub_f16_e32 v24, v13, v12
	v_add_f16_e32 v9, v23, v20
	v_add_f16_e32 v12, v19, v21
	v_sub_f16_e32 v22, v22, v15
	v_sub_f16_e32 v11, v14, v11
	;; [unrolled: 1-line block ×4, first 2 shown]
	v_add_f16_e32 v9, v9, v12
	v_add_f16_e32 v14, v11, v24
	v_sub_f16_e32 v29, v11, v24
	v_sub_f16_e32 v11, v22, v11
	v_add_f16_e32 v18, v8, v9
	v_mul_f16_e32 v27, 0x3a52, v13
	v_mul_f16_e32 v25, 0xb574, v11
	v_fma_f16 v20, v9, s9, v18
	v_fma_f16 v8, v28, s7, v27
	v_add_f16_e32 v30, v14, v22
	v_fma_f16 v9, v29, s8, v25
	v_add_f16_e32 v23, v8, v20
	v_lshl_add_u32 v8, v7, 1, 0
	v_fma_f16 v26, v30, s6, v9
	s_waitcnt lgkmcnt(0)
	s_barrier
	ds_read_u16 v9, v8
	ds_read_u16 v12, v8 offset:2310
	ds_read_u16 v15, v8 offset:1848
	;; [unrolled: 1-line block ×5, first 2 shown]
	v_add_f16_e32 v13, v26, v23
	s_waitcnt lgkmcnt(0)
	s_barrier
	s_and_saveexec_b64 s[4:5], vcc
	s_cbranch_execz .LBB0_21
; %bb.20:
	v_mul_f16_e32 v28, 0x2b26, v28
	v_sub_f16_e32 v19, v19, v21
	s_movk_i32 s6, 0x39e0
	v_sub_f16_e32 v21, v24, v22
	v_fma_f16 v22, v19, s6, -v28
	s_mov_b32 s6, 0xb9e0
	v_mul_f16_e32 v29, 0x3846, v29
	v_fma_f16 v19, v19, s6, -v27
	s_mov_b32 s6, 0xbb00
	v_fma_f16 v24, v21, s6, -v29
	s_movk_i32 s6, 0x3b00
	v_mul_u32_u24_e32 v17, 14, v17
	v_mul_f16_e32 v30, 0xb70e, v30
	v_fma_f16 v21, v21, s6, -v25
	v_or_b32_e32 v6, v17, v6
	v_add_f16_e32 v22, v22, v20
	v_add_f16_e32 v19, v19, v20
	;; [unrolled: 1-line block ×4, first 2 shown]
	v_lshl_add_u32 v6, v6, 1, 0
	v_sub_f16_e32 v23, v23, v26
	v_sub_f16_e32 v24, v19, v21
	v_add_f16_e32 v25, v20, v22
	v_sub_f16_e32 v20, v22, v20
	v_add_f16_e32 v19, v21, v19
	ds_write_b16 v6, v18
	ds_write_b16 v6, v23 offset:4
	ds_write_b16 v6, v24 offset:8
	;; [unrolled: 1-line block ×6, first 2 shown]
.LBB0_21:
	s_or_b64 exec, exec, s[4:5]
	v_lshrrev_b16_e32 v6, 1, v7
	v_and_b32_e32 v17, 0x7f, v6
	v_lshrrev_b16_e32 v18, 1, v0
	v_mul_lo_u16_e32 v17, 0x93, v17
	v_mul_u32_u24_e32 v18, 0x4925, v18
	v_lshrrev_b16_e32 v21, 10, v17
	v_lshrrev_b32_e32 v24, 17, v18
	v_mul_lo_u16_e32 v17, 14, v21
	v_mul_lo_u16_e32 v19, 14, v24
	v_sub_u16_e32 v22, v7, v17
	v_mov_b32_e32 v17, 3
	v_sub_u16_e32 v25, v0, v19
	v_lshlrev_b32_sdwa v17, v17, v22 dst_sel:DWORD dst_unused:UNUSED_PAD src0_sel:DWORD src1_sel:BYTE_0
	v_lshlrev_b32_e32 v19, 3, v25
	s_waitcnt lgkmcnt(0)
	s_barrier
	global_load_dwordx2 v[17:18], v17, s[12:13] offset:48
	v_mov_b32_e32 v28, 1
	global_load_dwordx2 v[19:20], v19, s[12:13] offset:48
	ds_read_u16 v23, v8
	ds_read_u16 v32, v8 offset:2310
	ds_read_u16 v27, v8 offset:1848
	;; [unrolled: 1-line block ×5, first 2 shown]
	v_mul_u32_u24_e32 v24, 0x54, v24
	v_mul_u32_u24_e32 v21, 0x54, v21
	v_lshlrev_b32_e32 v25, 1, v25
	v_lshlrev_b32_sdwa v22, v28, v22 dst_sel:DWORD dst_unused:UNUSED_PAD src0_sel:DWORD src1_sel:BYTE_0
	v_add3_u32 v28, 0, v24, v25
	v_add3_u32 v29, 0, v21, v22
	s_mov_b32 s6, 0xbaee
	s_movk_i32 s7, 0x3aee
	s_movk_i32 s4, 0x7e
	v_cmp_gt_u32_e32 vcc, s4, v7
	s_waitcnt vmcnt(0) lgkmcnt(0)
	s_barrier
	v_mul_f16_sdwa v21, v31, v17 dst_sel:DWORD dst_unused:UNUSED_PAD src0_sel:DWORD src1_sel:WORD_1
	v_mul_f16_sdwa v22, v16, v17 dst_sel:DWORD dst_unused:UNUSED_PAD src0_sel:DWORD src1_sel:WORD_1
	;; [unrolled: 1-line block ×8, first 2 shown]
	v_fma_f16 v24, v16, v17, v21
	v_fma_f16 v33, v31, v17, -v22
	v_fma_f16 v25, v15, v18, v25
	v_fma_f16 v34, v27, v18, -v34
	;; [unrolled: 2-line block ×4, first 2 shown]
	v_add_f16_e32 v14, v24, v25
	v_add_f16_e32 v17, v27, v30
	;; [unrolled: 1-line block ×3, first 2 shown]
	v_sub_f16_e32 v15, v33, v34
	v_add_f16_e32 v16, v11, v27
	v_sub_f16_e32 v18, v31, v32
	v_fma_f16 v9, v14, -0.5, v9
	v_fma_f16 v11, v17, -0.5, v11
	v_add_f16_e32 v12, v12, v25
	v_add_f16_e32 v14, v16, v30
	v_fma_f16 v16, v15, s6, v9
	v_fma_f16 v17, v15, s7, v9
	;; [unrolled: 1-line block ×4, first 2 shown]
	ds_write_b16 v29, v12
	ds_write_b16 v29, v16 offset:28
	ds_write_b16 v29, v17 offset:56
	ds_write_b16 v28, v14
	ds_write_b16 v28, v15 offset:28
	ds_write_b16 v28, v18 offset:56
	s_waitcnt lgkmcnt(0)
	s_barrier
	s_waitcnt lgkmcnt(0)
                                        ; implicit-def: $vgpr20
                                        ; implicit-def: $vgpr21
                                        ; implicit-def: $vgpr22
                                        ; implicit-def: $vgpr19
	s_and_saveexec_b64 s[4:5], vcc
	s_cbranch_execz .LBB0_23
; %bb.22:
	ds_read_u16 v12, v8
	ds_read_u16 v16, v8 offset:252
	ds_read_u16 v17, v8 offset:504
	;; [unrolled: 1-line block ×10, first 2 shown]
.LBB0_23:
	s_or_b64 exec, exec, s[4:5]
	v_add_f16_e32 v9, v23, v33
	v_add_f16_e32 v11, v9, v34
	;; [unrolled: 1-line block ×3, first 2 shown]
	v_fma_f16 v9, v9, -0.5, v23
	v_sub_f16_e32 v23, v24, v25
	v_fma_f16 v24, v23, s7, v9
	v_fma_f16 v23, v23, s6, v9
	v_add_f16_e32 v9, v26, v31
	v_add_f16_e32 v25, v9, v32
	;; [unrolled: 1-line block ×3, first 2 shown]
	v_fma_f16 v9, v9, -0.5, v26
	v_sub_f16_e32 v26, v27, v30
	v_fma_f16 v27, v26, s7, v9
	v_fma_f16 v26, v26, s6, v9
	s_waitcnt lgkmcnt(0)
	s_barrier
	ds_write_b16 v29, v11
	ds_write_b16 v29, v24 offset:28
	ds_write_b16 v29, v23 offset:56
	ds_write_b16 v28, v25
	ds_write_b16 v28, v27 offset:28
	ds_write_b16 v28, v26 offset:56
	s_waitcnt lgkmcnt(0)
	s_barrier
	s_waitcnt lgkmcnt(0)
                                        ; implicit-def: $vgpr36
                                        ; implicit-def: $vgpr32
                                        ; implicit-def: $vgpr28
                                        ; implicit-def: $vgpr31
	s_and_saveexec_b64 s[4:5], vcc
	s_cbranch_execz .LBB0_25
; %bb.24:
	ds_read_u16 v11, v8
	ds_read_u16 v24, v8 offset:252
	ds_read_u16 v23, v8 offset:504
	;; [unrolled: 1-line block ×10, first 2 shown]
.LBB0_25:
	s_or_b64 exec, exec, s[4:5]
	v_and_b32_e32 v6, 0x7f, v6
	v_mul_lo_u16_e32 v6, 49, v6
	v_lshrrev_b16_e32 v6, 10, v6
	v_mul_lo_u16_e32 v9, 42, v6
	v_sub_u16_e32 v9, v7, v9
	v_mov_b32_e32 v29, 10
	v_mul_u32_u24_sdwa v29, v9, v29 dst_sel:DWORD dst_unused:UNUSED_PAD src0_sel:BYTE_0 src1_sel:DWORD
	v_lshlrev_b32_e32 v29, 2, v29
	global_load_dwordx4 v[37:40], v29, s[12:13] offset:160
	global_load_dwordx4 v[41:44], v29, s[12:13] offset:176
	global_load_dwordx2 v[45:46], v29, s[12:13] offset:192
	s_waitcnt vmcnt(0) lgkmcnt(0)
	s_barrier
	v_mul_f16_sdwa v29, v24, v37 dst_sel:DWORD dst_unused:UNUSED_PAD src0_sel:DWORD src1_sel:WORD_1
	v_mul_f16_sdwa v30, v16, v37 dst_sel:DWORD dst_unused:UNUSED_PAD src0_sel:DWORD src1_sel:WORD_1
	;; [unrolled: 1-line block ×20, first 2 shown]
	v_fma_f16 v33, v16, v37, v29
	v_fma_f16 v34, v24, v37, -v30
	v_fma_f16 v29, v17, v38, v35
	v_fma_f16 v30, v23, v38, -v47
	;; [unrolled: 2-line block ×10, first 2 shown]
	s_and_saveexec_b64 s[4:5], vcc
	s_cbranch_execz .LBB0_27
; %bb.26:
	v_sub_f16_e32 v21, v34, v36
	v_add_f16_e32 v20, v33, v35
	v_mul_f16_e32 v22, 0xb482, v21
	s_mov_b32 s6, 0xbbad
	v_sub_f16_e32 v37, v30, v32
	v_fma_f16 v24, v20, s6, -v22
	v_add_f16_e32 v26, v29, v31
	v_mul_f16_e32 v38, 0x3853, v37
	s_movk_i32 s7, 0x3abb
	v_add_f16_e32 v24, v12, v24
	v_fma_f16 v39, v26, s7, -v38
	v_sub_f16_e32 v40, v25, v28
	v_add_f16_e32 v24, v39, v24
	v_add_f16_e32 v39, v23, v27
	v_mul_f16_e32 v41, 0xba0c, v40
	s_mov_b32 s8, 0xb93d
	v_fma_f16 v42, v39, s8, -v41
	v_sub_f16_e32 v43, v17, v19
	v_fma_f16 v22, v20, s6, v22
	v_add_f16_e32 v24, v42, v24
	v_add_f16_e32 v42, v16, v18
	v_mul_f16_e32 v44, 0x3b47, v43
	s_movk_i32 s9, 0x36a6
	v_add_f16_e32 v22, v12, v22
	v_fma_f16 v38, v26, s7, v38
	v_fma_f16 v45, v42, s9, -v44
	v_sub_f16_e32 v46, v15, v13
	v_add_f16_e32 v22, v38, v22
	v_fma_f16 v38, v39, s8, v41
	v_add_f16_e32 v24, v45, v24
	v_add_f16_e32 v45, v14, v10
	s_mov_b32 s14, 0xb08e
	v_mul_f16_e32 v47, 0xbbeb, v46
	v_add_f16_e32 v22, v38, v22
	v_fma_f16 v38, v42, s9, v44
	v_add_f16_e32 v22, v38, v22
	v_fma_f16 v38, v45, s14, v47
	v_add_f16_e32 v22, v38, v22
	v_mul_f16_e32 v38, 0xba0c, v21
	v_fma_f16 v41, v20, s8, -v38
	v_mul_f16_e32 v44, 0x3beb, v37
	v_fma_f16 v48, v45, s14, -v47
	v_add_f16_e32 v41, v12, v41
	v_fma_f16 v47, v26, s14, -v44
	v_add_f16_e32 v41, v47, v41
	v_mul_f16_e32 v47, 0xb853, v40
	v_add_f16_e32 v24, v48, v24
	v_fma_f16 v48, v39, s7, -v47
	v_fma_f16 v38, v20, s8, v38
	v_add_f16_e32 v41, v48, v41
	v_mul_f16_e32 v48, 0xb482, v43
	v_add_f16_e32 v38, v12, v38
	v_fma_f16 v44, v26, s14, v44
	v_fma_f16 v49, v42, s6, -v48
	v_add_f16_e32 v38, v44, v38
	v_fma_f16 v44, v39, s7, v47
	v_add_f16_e32 v41, v49, v41
	v_mul_f16_e32 v49, 0x3b47, v46
	v_add_f16_e32 v38, v44, v38
	v_fma_f16 v44, v42, s6, v48
	v_add_f16_e32 v38, v44, v38
	v_fma_f16 v44, v45, s9, v49
	v_add_f16_e32 v38, v44, v38
	v_mul_f16_e32 v44, 0xbbeb, v21
	v_fma_f16 v47, v20, s14, -v44
	v_mul_f16_e32 v48, 0x3482, v37
	v_fma_f16 v50, v45, s9, -v49
	v_add_f16_e32 v47, v12, v47
	v_fma_f16 v49, v26, s6, -v48
	v_add_f16_e32 v47, v49, v47
	v_mul_f16_e32 v49, 0x3b47, v40
	v_add_f16_e32 v41, v50, v41
	v_fma_f16 v50, v39, s9, -v49
	v_fma_f16 v44, v20, s14, v44
	v_add_f16_e32 v47, v50, v47
	v_mul_f16_e32 v50, 0xb853, v43
	v_add_f16_e32 v44, v12, v44
	v_fma_f16 v48, v26, s6, v48
	v_fma_f16 v51, v42, s7, -v50
	v_add_f16_e32 v44, v48, v44
	v_fma_f16 v48, v39, s9, v49
	v_add_f16_e32 v47, v51, v47
	;; [unrolled: 25-line block ×3, first 2 shown]
	v_mul_f16_e32 v53, 0x3853, v46
	v_add_f16_e32 v48, v50, v48
	v_fma_f16 v50, v42, s14, v52
	v_add_f16_e32 v48, v50, v48
	v_fma_f16 v50, v45, s7, v53
	v_mul_f16_e32 v21, 0xb853, v21
	v_add_f16_e32 v48, v50, v48
	v_fma_f16 v50, v20, s7, -v21
	v_fma_f16 v20, v20, s7, v21
	v_add_f16_e32 v50, v12, v50
	v_add_f16_e32 v20, v12, v20
	;; [unrolled: 1-line block ×5, first 2 shown]
	v_mul_f16_e32 v37, 0xbb47, v37
	v_add_f16_e32 v12, v12, v16
	v_mul_f16_e32 v40, 0xbbeb, v40
	v_fma_f16 v21, v26, s9, v37
	v_add_f16_e32 v12, v12, v14
	v_mul_f16_e32 v43, 0xba0c, v43
	v_add_f16_e32 v20, v21, v20
	v_fma_f16 v21, v39, s14, v40
	v_add_f16_e32 v12, v12, v10
	v_fma_f16 v51, v26, s9, -v37
	v_mul_f16_e32 v46, 0xb482, v46
	v_add_f16_e32 v20, v21, v20
	v_add_f16_e32 v12, v12, v18
	v_fma_f16 v21, v42, s8, v43
	v_add_f16_e32 v50, v51, v50
	v_fma_f16 v51, v39, s14, -v40
	v_add_f16_e32 v12, v12, v27
	v_add_f16_e32 v20, v21, v20
	v_fma_f16 v21, v45, s6, v46
	v_mov_b32_e32 v26, 1
	v_add_f16_e32 v50, v51, v50
	v_fma_f16 v51, v42, s8, -v43
	v_add_f16_e32 v12, v12, v31
	v_add_f16_e32 v20, v21, v20
	v_mul_u32_u24_e32 v21, 0x39c, v6
	v_lshlrev_b32_sdwa v26, v26, v9 dst_sel:DWORD dst_unused:UNUSED_PAD src0_sel:DWORD src1_sel:BYTE_0
	v_fma_f16 v54, v45, s7, -v53
	v_add_f16_e32 v50, v51, v50
	v_fma_f16 v51, v45, s6, -v46
	v_add_f16_e32 v12, v12, v35
	v_add3_u32 v21, 0, v21, v26
	v_add_f16_e32 v49, v54, v49
	v_add_f16_e32 v50, v51, v50
	ds_write_b16 v21, v12
	ds_write_b16 v21, v20 offset:84
	ds_write_b16 v21, v48 offset:168
	;; [unrolled: 1-line block ×10, first 2 shown]
.LBB0_27:
	s_or_b64 exec, exec, s[4:5]
	s_waitcnt lgkmcnt(0)
	s_barrier
	ds_read_u16 v12, v8
	ds_read_u16 v24, v8 offset:2310
	ds_read_u16 v20, v8 offset:1848
	;; [unrolled: 1-line block ×5, first 2 shown]
	s_waitcnt lgkmcnt(0)
	s_barrier
	s_and_saveexec_b64 s[4:5], vcc
	s_cbranch_execz .LBB0_29
; %bb.28:
	v_add_f16_e32 v37, v11, v34
	v_add_f16_e32 v37, v37, v30
	;; [unrolled: 1-line block ×10, first 2 shown]
	v_sub_f16_e32 v33, v33, v35
	v_mul_f16_e32 v35, 0x3abb, v34
	s_movk_i32 s6, 0x3853
	s_mov_b32 s7, 0xb853
	v_mul_f16_e32 v38, 0x36a6, v34
	s_movk_i32 s8, 0x3b47
	s_mov_b32 s9, 0xbb47
	;; [unrolled: 3-line block ×5, first 2 shown]
	v_add_f16_e32 v30, v30, v32
	v_add_f16_e32 v37, v37, v36
	v_fma_f16 v36, v33, s6, v35
	v_fma_f16 v35, v33, s7, v35
	;; [unrolled: 1-line block ×10, first 2 shown]
	v_sub_f16_e32 v29, v29, v31
	v_mul_f16_e32 v31, 0x36a6, v30
	v_add_f16_e32 v36, v11, v36
	v_add_f16_e32 v35, v11, v35
	;; [unrolled: 1-line block ×10, first 2 shown]
	v_fma_f16 v32, v29, s8, v31
	v_fma_f16 v31, v29, s9, v31
	v_mul_f16_e32 v33, 0xb93d, v30
	v_add_f16_e32 v31, v31, v35
	v_fma_f16 v34, v29, s16, v33
	v_fma_f16 v33, v29, s17, v33
	v_mul_f16_e32 v35, 0xbbad, v30
	v_add_f16_e32 v32, v32, v36
	v_add_f16_e32 v33, v33, v38
	v_fma_f16 v36, v29, s19, v35
	v_fma_f16 v35, v29, s18, v35
	v_mul_f16_e32 v38, 0xb08e, v30
	v_mul_f16_e32 v30, 0x3abb, v30
	v_add_f16_e32 v25, v25, v28
	v_add_f16_e32 v34, v34, v39
	v_add_f16_e32 v35, v35, v40
	v_fma_f16 v39, v29, s15, v38
	v_fma_f16 v38, v29, s14, v38
	v_fma_f16 v40, v29, s7, v30
	v_fma_f16 v29, v29, s6, v30
	v_sub_f16_e32 v23, v23, v27
	v_mul_f16_e32 v27, 0xb08e, v25
	v_add_f16_e32 v11, v29, v11
	v_fma_f16 v28, v23, s14, v27
	v_fma_f16 v27, v23, s15, v27
	v_mul_f16_e32 v29, 0xbbad, v25
	v_add_f16_e32 v27, v27, v31
	v_fma_f16 v30, v23, s19, v29
	v_fma_f16 v29, v23, s18, v29
	v_mul_f16_e32 v31, 0x36a6, v25
	v_add_f16_e32 v28, v28, v32
	v_add_f16_e32 v29, v29, v33
	v_fma_f16 v32, v23, s9, v31
	v_fma_f16 v31, v23, s8, v31
	v_mul_f16_e32 v33, 0x3abb, v25
	v_mul_f16_e32 v25, 0xb93d, v25
	v_add_f16_e32 v17, v17, v19
	v_add_f16_e32 v30, v30, v34
	v_add_f16_e32 v31, v31, v35
	v_fma_f16 v34, v23, s6, v33
	v_fma_f16 v33, v23, s7, v33
	v_fma_f16 v35, v23, s16, v25
	v_fma_f16 v23, v23, s17, v25
	v_sub_f16_e32 v16, v16, v18
	v_mul_f16_e32 v18, 0xb93d, v17
	v_add_f16_e32 v11, v23, v11
	;; [unrolled: 23-line block ×3, first 2 shown]
	v_fma_f16 v15, v10, s18, v14
	v_fma_f16 v14, v10, s19, v14
	v_mul_f16_e32 v16, 0x3abb, v13
	v_add_f16_e32 v14, v14, v18
	v_fma_f16 v17, v10, s7, v16
	v_fma_f16 v16, v10, s6, v16
	v_mul_f16_e32 v18, 0xb93d, v13
	v_add_f16_e32 v15, v15, v19
	v_add_f16_e32 v16, v16, v23
	v_fma_f16 v19, v10, s16, v18
	v_fma_f16 v18, v10, s17, v18
	v_mul_f16_e32 v23, 0x36a6, v13
	v_mul_f16_e32 v13, 0xb08e, v13
	v_add_f16_e32 v17, v17, v25
	v_add_f16_e32 v18, v18, v27
	v_fma_f16 v25, v10, s9, v23
	v_fma_f16 v23, v10, s8, v23
	;; [unrolled: 1-line block ×4, first 2 shown]
	v_add_f16_e32 v36, v36, v41
	v_add_f16_e32 v39, v39, v43
	;; [unrolled: 1-line block ×5, first 2 shown]
	v_mov_b32_e32 v11, 1
	v_add_f16_e32 v32, v32, v36
	v_add_f16_e32 v34, v34, v39
	;; [unrolled: 1-line block ×4, first 2 shown]
	v_mul_u32_u24_e32 v6, 0x39c, v6
	v_lshlrev_b32_sdwa v9, v11, v9 dst_sel:DWORD dst_unused:UNUSED_PAD src0_sel:DWORD src1_sel:BYTE_0
	v_add_f16_e32 v28, v28, v32
	v_add_f16_e32 v30, v30, v34
	;; [unrolled: 1-line block ×4, first 2 shown]
	v_add3_u32 v6, 0, v6, v9
	v_add_f16_e32 v19, v19, v28
	v_add_f16_e32 v25, v25, v30
	;; [unrolled: 1-line block ×4, first 2 shown]
	ds_write_b16 v6, v37
	ds_write_b16 v6, v15 offset:84
	ds_write_b16 v6, v17 offset:168
	;; [unrolled: 1-line block ×10, first 2 shown]
.LBB0_29:
	s_or_b64 exec, exec, s[4:5]
	s_waitcnt lgkmcnt(0)
	s_barrier
	s_and_saveexec_b64 s[4:5], s[0:1]
	s_cbranch_execz .LBB0_31
; %bb.30:
	v_lshlrev_b32_e32 v9, 1, v0
	v_mov_b32_e32 v10, 0
	v_lshlrev_b64 v[13:14], 2, v[9:10]
	v_mov_b32_e32 v6, v10
	v_mov_b32_e32 v0, s13
	v_add_co_u32_e32 v13, vcc, s12, v13
	v_lshlrev_b64 v[5:6], 2, v[5:6]
	v_addc_co_u32_e32 v14, vcc, v0, v14, vcc
	v_add_co_u32_e32 v5, vcc, s12, v5
	global_load_dwordx2 v[13:14], v[13:14], off offset:1840
	v_addc_co_u32_e32 v6, vcc, v0, v6, vcc
	global_load_dwordx2 v[5:6], v[5:6], off offset:1840
	v_mul_lo_u32 v9, s3, v3
	v_mul_lo_u32 v11, s2, v4
	v_mad_u64_u32 v[3:4], s[0:1], s2, v3, 0
	v_lshrrev_b32_e32 v0, 1, v7
	s_mov_b32 s2, 0x8dda5203
	v_add3_u32 v4, v4, v11, v9
	v_mul_hi_u32 v23, v0, s2
	v_lshlrev_b64 v[0:1], 2, v[1:2]
	v_lshlrev_b64 v[2:3], 2, v[3:4]
	v_mov_b32_e32 v25, s11
	v_add_co_u32_e32 v2, vcc, s10, v2
	ds_read_u16 v15, v8 offset:2310
	ds_read_u16 v16, v8 offset:1848
	;; [unrolled: 1-line block ×5, first 2 shown]
	ds_read_u16 v8, v8
	v_addc_co_u32_e32 v3, vcc, v25, v3, vcc
	v_lshrrev_b32_e32 v9, 7, v23
	v_add_co_u32_e32 v2, vcc, v2, v0
	v_mul_u32_u24_e32 v4, 0x1ce, v9
	v_addc_co_u32_e32 v3, vcc, v3, v1, vcc
	s_mov_b32 s0, 0xbaee
	s_movk_i32 s1, 0x3aee
	v_sub_u32_e32 v4, v7, v4
	s_waitcnt vmcnt(1)
	v_mul_f16_sdwa v0, v26, v13 dst_sel:DWORD dst_unused:UNUSED_PAD src0_sel:DWORD src1_sel:WORD_1
	v_mul_f16_sdwa v1, v24, v14 dst_sel:DWORD dst_unused:UNUSED_PAD src0_sel:DWORD src1_sel:WORD_1
	s_waitcnt lgkmcnt(3)
	v_mul_f16_sdwa v9, v17, v13 dst_sel:DWORD dst_unused:UNUSED_PAD src0_sel:DWORD src1_sel:WORD_1
	v_mul_f16_sdwa v11, v15, v14 dst_sel:DWORD dst_unused:UNUSED_PAD src0_sel:DWORD src1_sel:WORD_1
	v_fma_f16 v0, v17, v13, -v0
	v_fma_f16 v1, v15, v14, -v1
	v_fma_f16 v9, v26, v13, v9
	v_fma_f16 v11, v24, v14, v11
	s_waitcnt vmcnt(0)
	v_mul_f16_sdwa v13, v22, v5 dst_sel:DWORD dst_unused:UNUSED_PAD src0_sel:DWORD src1_sel:WORD_1
	v_mul_f16_sdwa v14, v20, v6 dst_sel:DWORD dst_unused:UNUSED_PAD src0_sel:DWORD src1_sel:WORD_1
	s_waitcnt lgkmcnt(2)
	v_mul_f16_sdwa v15, v18, v5 dst_sel:DWORD dst_unused:UNUSED_PAD src0_sel:DWORD src1_sel:WORD_1
	v_mul_f16_sdwa v17, v16, v6 dst_sel:DWORD dst_unused:UNUSED_PAD src0_sel:DWORD src1_sel:WORD_1
	v_add_f16_e32 v23, v0, v1
	v_sub_f16_e32 v24, v9, v11
	v_add_f16_e32 v25, v9, v11
	v_sub_f16_e32 v26, v0, v1
	s_waitcnt lgkmcnt(1)
	v_add_f16_e32 v0, v19, v0
	v_add_f16_e32 v9, v21, v9
	v_fma_f16 v13, v18, v5, -v13
	v_fma_f16 v14, v16, v6, -v14
	v_fma_f16 v5, v22, v5, v15
	v_fma_f16 v6, v20, v6, v17
	v_add_f16_e32 v17, v0, v1
	v_add_f16_e32 v11, v9, v11
	;; [unrolled: 1-line block ×3, first 2 shown]
	v_sub_f16_e32 v1, v5, v6
	v_add_f16_e32 v9, v5, v6
	v_sub_f16_e32 v18, v13, v14
	s_waitcnt lgkmcnt(0)
	v_add_f16_e32 v13, v8, v13
	v_add_f16_e32 v5, v12, v5
	v_fma_f16 v0, v0, -0.5, v8
	v_fma_f16 v8, v9, -0.5, v12
	v_add_f16_e32 v9, v13, v14
	v_add_f16_e32 v5, v5, v6
	v_fma_f16 v6, v1, s0, v0
	v_fma_f16 v13, v1, s1, v0
	v_lshlrev_b32_e32 v0, 2, v4
	v_pack_b32_f16 v4, v5, v9
	v_add_u32_e32 v5, 0xe7, v7
	v_lshrrev_b32_e32 v7, 1, v5
	v_add_co_u32_e32 v0, vcc, v2, v0
	v_mul_hi_u32 v7, v7, s2
	v_fma_f16 v12, v18, s1, v8
	v_fma_f16 v8, v18, s0, v8
	v_addc_co_u32_e32 v1, vcc, 0, v3, vcc
	global_store_dword v[0:1], v4, off
	v_pack_b32_f16 v4, v8, v13
	global_store_dword v[0:1], v4, off offset:1848
	v_pack_b32_f16 v4, v12, v6
	global_store_dword v[0:1], v4, off offset:3696
	v_lshrrev_b32_e32 v0, 7, v7
	v_fma_f16 v15, v23, -0.5, v19
	v_fma_f16 v16, v25, -0.5, v21
	v_mul_u32_u24_e32 v1, 0x1ce, v0
	v_fma_f16 v19, v24, s0, v15
	v_fma_f16 v20, v26, s1, v16
	;; [unrolled: 1-line block ×3, first 2 shown]
	v_sub_u32_e32 v1, v5, v1
	s_movk_i32 s0, 0x56a
	v_mad_u32_u24 v9, v0, s0, v1
	v_lshlrev_b64 v[0:1], 2, v[9:10]
	v_pack_b32_f16 v4, v11, v17
	v_add_co_u32_e32 v0, vcc, v2, v0
	v_addc_co_u32_e32 v1, vcc, v3, v1, vcc
	global_store_dword v[0:1], v4, off
	v_add_u32_e32 v0, 0x1ce, v9
	v_mov_b32_e32 v1, v10
	v_lshlrev_b64 v[0:1], 2, v[0:1]
	v_fma_f16 v15, v24, s1, v15
	v_add_co_u32_e32 v0, vcc, v2, v0
	v_addc_co_u32_e32 v1, vcc, v3, v1, vcc
	v_pack_b32_f16 v4, v16, v15
	v_add_u32_e32 v9, 0x39c, v9
	global_store_dword v[0:1], v4, off
	v_lshlrev_b64 v[0:1], 2, v[9:10]
	v_add_co_u32_e32 v0, vcc, v2, v0
	v_addc_co_u32_e32 v1, vcc, v3, v1, vcc
	v_pack_b32_f16 v2, v20, v19
	global_store_dword v[0:1], v2, off
.LBB0_31:
	s_endpgm
	.section	.rodata,"a",@progbits
	.p2align	6, 0x0
	.amdhsa_kernel fft_rtc_back_len1386_factors_2_7_3_11_3_wgs_231_tpt_231_halfLds_half_op_CI_CI_unitstride_sbrr_dirReg
		.amdhsa_group_segment_fixed_size 0
		.amdhsa_private_segment_fixed_size 0
		.amdhsa_kernarg_size 104
		.amdhsa_user_sgpr_count 6
		.amdhsa_user_sgpr_private_segment_buffer 1
		.amdhsa_user_sgpr_dispatch_ptr 0
		.amdhsa_user_sgpr_queue_ptr 0
		.amdhsa_user_sgpr_kernarg_segment_ptr 1
		.amdhsa_user_sgpr_dispatch_id 0
		.amdhsa_user_sgpr_flat_scratch_init 0
		.amdhsa_user_sgpr_private_segment_size 0
		.amdhsa_uses_dynamic_stack 0
		.amdhsa_system_sgpr_private_segment_wavefront_offset 0
		.amdhsa_system_sgpr_workgroup_id_x 1
		.amdhsa_system_sgpr_workgroup_id_y 0
		.amdhsa_system_sgpr_workgroup_id_z 0
		.amdhsa_system_sgpr_workgroup_info 0
		.amdhsa_system_vgpr_workitem_id 0
		.amdhsa_next_free_vgpr 64
		.amdhsa_next_free_sgpr 28
		.amdhsa_reserve_vcc 1
		.amdhsa_reserve_flat_scratch 0
		.amdhsa_float_round_mode_32 0
		.amdhsa_float_round_mode_16_64 0
		.amdhsa_float_denorm_mode_32 3
		.amdhsa_float_denorm_mode_16_64 3
		.amdhsa_dx10_clamp 1
		.amdhsa_ieee_mode 1
		.amdhsa_fp16_overflow 0
		.amdhsa_exception_fp_ieee_invalid_op 0
		.amdhsa_exception_fp_denorm_src 0
		.amdhsa_exception_fp_ieee_div_zero 0
		.amdhsa_exception_fp_ieee_overflow 0
		.amdhsa_exception_fp_ieee_underflow 0
		.amdhsa_exception_fp_ieee_inexact 0
		.amdhsa_exception_int_div_zero 0
	.end_amdhsa_kernel
	.text
.Lfunc_end0:
	.size	fft_rtc_back_len1386_factors_2_7_3_11_3_wgs_231_tpt_231_halfLds_half_op_CI_CI_unitstride_sbrr_dirReg, .Lfunc_end0-fft_rtc_back_len1386_factors_2_7_3_11_3_wgs_231_tpt_231_halfLds_half_op_CI_CI_unitstride_sbrr_dirReg
                                        ; -- End function
	.section	.AMDGPU.csdata,"",@progbits
; Kernel info:
; codeLenInByte = 6968
; NumSgprs: 32
; NumVgprs: 64
; ScratchSize: 0
; MemoryBound: 0
; FloatMode: 240
; IeeeMode: 1
; LDSByteSize: 0 bytes/workgroup (compile time only)
; SGPRBlocks: 3
; VGPRBlocks: 15
; NumSGPRsForWavesPerEU: 32
; NumVGPRsForWavesPerEU: 64
; Occupancy: 4
; WaveLimiterHint : 1
; COMPUTE_PGM_RSRC2:SCRATCH_EN: 0
; COMPUTE_PGM_RSRC2:USER_SGPR: 6
; COMPUTE_PGM_RSRC2:TRAP_HANDLER: 0
; COMPUTE_PGM_RSRC2:TGID_X_EN: 1
; COMPUTE_PGM_RSRC2:TGID_Y_EN: 0
; COMPUTE_PGM_RSRC2:TGID_Z_EN: 0
; COMPUTE_PGM_RSRC2:TIDIG_COMP_CNT: 0
	.type	__hip_cuid_5d6ca80d65cfe67d,@object ; @__hip_cuid_5d6ca80d65cfe67d
	.section	.bss,"aw",@nobits
	.globl	__hip_cuid_5d6ca80d65cfe67d
__hip_cuid_5d6ca80d65cfe67d:
	.byte	0                               ; 0x0
	.size	__hip_cuid_5d6ca80d65cfe67d, 1

	.ident	"AMD clang version 19.0.0git (https://github.com/RadeonOpenCompute/llvm-project roc-6.4.0 25133 c7fe45cf4b819c5991fe208aaa96edf142730f1d)"
	.section	".note.GNU-stack","",@progbits
	.addrsig
	.addrsig_sym __hip_cuid_5d6ca80d65cfe67d
	.amdgpu_metadata
---
amdhsa.kernels:
  - .args:
      - .actual_access:  read_only
        .address_space:  global
        .offset:         0
        .size:           8
        .value_kind:     global_buffer
      - .offset:         8
        .size:           8
        .value_kind:     by_value
      - .actual_access:  read_only
        .address_space:  global
        .offset:         16
        .size:           8
        .value_kind:     global_buffer
      - .actual_access:  read_only
        .address_space:  global
        .offset:         24
        .size:           8
        .value_kind:     global_buffer
      - .actual_access:  read_only
        .address_space:  global
        .offset:         32
        .size:           8
        .value_kind:     global_buffer
      - .offset:         40
        .size:           8
        .value_kind:     by_value
      - .actual_access:  read_only
        .address_space:  global
        .offset:         48
        .size:           8
        .value_kind:     global_buffer
      - .actual_access:  read_only
        .address_space:  global
        .offset:         56
        .size:           8
        .value_kind:     global_buffer
      - .offset:         64
        .size:           4
        .value_kind:     by_value
      - .actual_access:  read_only
        .address_space:  global
        .offset:         72
        .size:           8
        .value_kind:     global_buffer
      - .actual_access:  read_only
        .address_space:  global
        .offset:         80
        .size:           8
        .value_kind:     global_buffer
      - .actual_access:  read_only
        .address_space:  global
        .offset:         88
        .size:           8
        .value_kind:     global_buffer
      - .actual_access:  write_only
        .address_space:  global
        .offset:         96
        .size:           8
        .value_kind:     global_buffer
    .group_segment_fixed_size: 0
    .kernarg_segment_align: 8
    .kernarg_segment_size: 104
    .language:       OpenCL C
    .language_version:
      - 2
      - 0
    .max_flat_workgroup_size: 231
    .name:           fft_rtc_back_len1386_factors_2_7_3_11_3_wgs_231_tpt_231_halfLds_half_op_CI_CI_unitstride_sbrr_dirReg
    .private_segment_fixed_size: 0
    .sgpr_count:     32
    .sgpr_spill_count: 0
    .symbol:         fft_rtc_back_len1386_factors_2_7_3_11_3_wgs_231_tpt_231_halfLds_half_op_CI_CI_unitstride_sbrr_dirReg.kd
    .uniform_work_group_size: 1
    .uses_dynamic_stack: false
    .vgpr_count:     64
    .vgpr_spill_count: 0
    .wavefront_size: 64
amdhsa.target:   amdgcn-amd-amdhsa--gfx906
amdhsa.version:
  - 1
  - 2
...

	.end_amdgpu_metadata
